;; amdgpu-corpus repo=ROCm/rocFFT kind=compiled arch=gfx1030 opt=O3
	.text
	.amdgcn_target "amdgcn-amd-amdhsa--gfx1030"
	.amdhsa_code_object_version 6
	.protected	bluestein_single_back_len39_dim1_dp_op_CI_CI ; -- Begin function bluestein_single_back_len39_dim1_dp_op_CI_CI
	.globl	bluestein_single_back_len39_dim1_dp_op_CI_CI
	.p2align	8
	.type	bluestein_single_back_len39_dim1_dp_op_CI_CI,@function
bluestein_single_back_len39_dim1_dp_op_CI_CI: ; @bluestein_single_back_len39_dim1_dp_op_CI_CI
; %bb.0:
	s_load_dwordx4 s[0:3], s[4:5], 0x28
	v_mul_u32_u24_e32 v1, 0x13b2, v0
	v_lshrrev_b32_e32 v1, 16, v1
	v_mad_u64_u32 v[92:93], null, s6, 19, v[1:2]
	v_mov_b32_e32 v93, 0
	s_waitcnt lgkmcnt(0)
	v_cmp_gt_u64_e32 vcc_lo, s[0:1], v[92:93]
	s_and_saveexec_b32 s0, vcc_lo
	s_cbranch_execz .LBB0_15
; %bb.1:
	v_mul_hi_u32 v2, 0xaf286bcb, v92
	v_mul_lo_u16 v1, v1, 13
	s_clause 0x1
	s_load_dwordx2 s[12:13], s[4:5], 0x0
	s_load_dwordx2 s[6:7], s[4:5], 0x38
	v_sub_nc_u16 v0, v0, v1
	v_sub_nc_u32_e32 v3, v92, v2
	v_and_b32_e32 v168, 0xffff, v0
	v_cmp_gt_u16_e32 vcc_lo, 3, v0
	v_lshrrev_b32_e32 v3, 1, v3
	v_lshlrev_b32_e32 v170, 4, v168
	v_or_b32_e32 v167, 12, v168
	v_add_nc_u32_e32 v2, v3, v2
	v_or_b32_e32 v166, 24, v168
	v_or_b32_e32 v165, 36, v168
	v_lshrrev_b32_e32 v2, 4, v2
	v_mul_lo_u32 v2, v2, 19
	v_sub_nc_u32_e32 v1, v92, v2
	v_mul_u32_u24_e32 v169, 39, v1
	v_lshlrev_b32_e32 v171, 4, v169
	s_and_saveexec_b32 s1, vcc_lo
	s_cbranch_execz .LBB0_3
; %bb.2:
	s_load_dwordx2 s[8:9], s[4:5], 0x18
	s_waitcnt lgkmcnt(0)
	s_load_dwordx4 s[8:11], s[8:9], 0x0
	s_clause 0x6
	global_load_dwordx4 v[0:3], v170, s[12:13]
	global_load_dwordx4 v[4:7], v170, s[12:13] offset:48
	global_load_dwordx4 v[8:11], v170, s[12:13] offset:192
	;; [unrolled: 1-line block ×6, first 2 shown]
	s_waitcnt lgkmcnt(0)
	v_mad_u64_u32 v[28:29], null, s10, v92, 0
	v_mad_u64_u32 v[30:31], null, s8, v168, 0
	;; [unrolled: 1-line block ×7, first 2 shown]
	s_mul_i32 s0, s9, 48
	s_mul_hi_u32 s10, s8, 48
	s_mul_i32 s11, s8, 48
	s_add_i32 s10, s10, s0
	v_mov_b32_e32 v29, v38
	s_mul_i32 s14, s9, 0x60
	v_mov_b32_e32 v31, v39
	v_mad_u64_u32 v[38:39], null, s9, v167, v[33:34]
	v_lshlrev_b64 v[28:29], 4, v[28:29]
	v_mad_u64_u32 v[39:40], null, s9, v166, v[35:36]
	v_lshlrev_b64 v[30:31], 4, v[30:31]
	v_add_co_u32 v40, s0, s2, v28
	v_add_co_ci_u32_e64 v41, s0, s3, v29, s0
	v_mad_u64_u32 v[28:29], null, s9, v165, v[37:38]
	v_add_co_u32 v29, s0, v40, v30
	v_add_co_ci_u32_e64 v30, s0, v41, v31, s0
	v_mov_b32_e32 v33, v38
	v_add_co_u32 v60, s0, v29, s11
	v_add_co_ci_u32_e64 v61, s0, s10, v30, s0
	v_mov_b32_e32 v35, v39
	v_add_co_u32 v64, s0, v60, s11
	v_add_co_ci_u32_e64 v65, s0, s10, v61, s0
	v_lshlrev_b64 v[31:32], 4, v[32:33]
	v_add_co_u32 v68, s0, v64, s11
	v_add_co_ci_u32_e64 v69, s0, s10, v65, s0
	v_lshlrev_b64 v[33:34], 4, v[34:35]
	v_mov_b32_e32 v37, v28
	v_add_co_u32 v38, s0, v40, v31
	v_mad_u64_u32 v[72:73], null, 0x60, s8, v[68:69]
	v_add_co_ci_u32_e64 v39, s0, v41, v32, s0
	v_lshlrev_b64 v[36:37], 4, v[36:37]
	v_add_co_u32 v44, s0, v40, v33
	v_add_co_ci_u32_e64 v45, s0, v41, v34, s0
	v_add_nc_u32_e32 v73, s14, v73
	v_add_co_u32 v76, s0, v72, s11
	s_clause 0x1
	global_load_dwordx4 v[28:31], v[29:30], off
	global_load_dwordx4 v[32:35], v[38:39], off
	v_add_co_ci_u32_e64 v77, s0, s10, v73, s0
	v_add_co_u32 v48, s0, v40, v36
	v_add_co_ci_u32_e64 v49, s0, v41, v37, s0
	v_add_co_u32 v80, s0, v76, s11
	v_add_co_ci_u32_e64 v81, s0, s10, v77, s0
	s_clause 0x1
	global_load_dwordx4 v[36:39], v170, s[12:13] offset:96
	global_load_dwordx4 v[40:43], v170, s[12:13] offset:144
	s_clause 0x1
	global_load_dwordx4 v[44:47], v[44:45], off
	global_load_dwordx4 v[48:51], v[48:49], off
	s_clause 0x1
	global_load_dwordx4 v[52:55], v170, s[12:13] offset:288
	global_load_dwordx4 v[56:59], v170, s[12:13] offset:336
	s_clause 0x3
	global_load_dwordx4 v[60:63], v[60:61], off
	global_load_dwordx4 v[64:67], v[64:65], off
	global_load_dwordx4 v[68:71], v[68:69], off
	global_load_dwordx4 v[72:75], v[72:73], off
	global_load_dwordx4 v[76:79], v[76:77], off
	v_mad_u64_u32 v[84:85], null, 0x60, s8, v[80:81]
	global_load_dwordx4 v[80:83], v[80:81], off
	v_add_nc_u32_e32 v85, s14, v85
	v_add_co_u32 v88, s0, v84, s11
	v_add_co_ci_u32_e64 v89, s0, s10, v85, s0
	v_add_co_u32 v101, s0, v88, s11
	v_add_co_ci_u32_e64 v102, s0, s10, v89, s0
	global_load_dwordx4 v[84:87], v[84:85], off
	global_load_dwordx4 v[88:91], v[88:89], off
	s_clause 0x1
	global_load_dwordx4 v[93:96], v170, s[12:13] offset:480
	global_load_dwordx4 v[97:100], v170, s[12:13] offset:528
	global_load_dwordx4 v[101:104], v[101:102], off
	s_waitcnt vmcnt(18)
	v_mul_f64 v[105:106], v[30:31], v[2:3]
	v_mul_f64 v[2:3], v[28:29], v[2:3]
	s_waitcnt vmcnt(17)
	v_mul_f64 v[107:108], v[34:35], v[10:11]
	v_mul_f64 v[10:11], v[32:33], v[10:11]
	;; [unrolled: 3-line block ×4, first 2 shown]
	v_mul_f64 v[109:110], v[46:47], v[22:23]
	v_mul_f64 v[22:23], v[44:45], v[22:23]
	s_waitcnt vmcnt(9)
	v_mul_f64 v[117:118], v[66:67], v[38:39]
	v_mul_f64 v[38:39], v[64:65], v[38:39]
	s_waitcnt vmcnt(8)
	;; [unrolled: 3-line block ×3, first 2 shown]
	v_mul_f64 v[121:122], v[82:83], v[58:59]
	v_mul_f64 v[58:59], v[80:81], v[58:59]
	v_fma_f64 v[28:29], v[28:29], v[0:1], v[105:106]
	v_mul_f64 v[105:106], v[74:75], v[14:15]
	v_mul_f64 v[14:15], v[72:73], v[14:15]
	v_fma_f64 v[30:31], v[30:31], v[0:1], -v[2:3]
	v_fma_f64 v[0:1], v[32:33], v[8:9], v[107:108]
	v_mul_f64 v[107:108], v[78:79], v[54:55]
	v_mul_f64 v[54:55], v[76:77], v[54:55]
	v_fma_f64 v[2:3], v[34:35], v[8:9], -v[10:11]
	v_fma_f64 v[10:11], v[48:49], v[16:17], v[111:112]
	s_waitcnt vmcnt(4)
	v_mul_f64 v[123:124], v[86:87], v[26:27]
	v_mul_f64 v[26:27], v[84:85], v[26:27]
	s_waitcnt vmcnt(2)
	v_mul_f64 v[125:126], v[90:91], v[95:96]
	v_mul_f64 v[95:96], v[88:89], v[95:96]
	;; [unrolled: 3-line block ×3, first 2 shown]
	v_fma_f64 v[6:7], v[44:45], v[20:21], v[109:110]
	v_fma_f64 v[8:9], v[46:47], v[20:21], -v[22:23]
	v_fma_f64 v[18:19], v[60:61], v[4:5], v[18:19]
	v_fma_f64 v[20:21], v[62:63], v[4:5], -v[115:116]
	;; [unrolled: 2-line block ×5, first 2 shown]
	v_fma_f64 v[12:13], v[50:51], v[16:17], -v[113:114]
	v_lshl_add_u32 v4, v168, 4, v171
	v_fma_f64 v[44:45], v[76:77], v[52:53], v[107:108]
	v_fma_f64 v[46:47], v[78:79], v[52:53], -v[54:55]
	v_fma_f64 v[52:53], v[80:81], v[56:57], v[121:122]
	v_fma_f64 v[54:55], v[82:83], v[56:57], -v[58:59]
	;; [unrolled: 2-line block ×5, first 2 shown]
	v_add_nc_u32_e32 v5, v171, v170
	ds_write_b128 v4, v[28:31]
	ds_write_b128 v5, v[0:3] offset:192
	ds_write_b128 v5, v[6:9] offset:384
	;; [unrolled: 1-line block ×12, first 2 shown]
.LBB0_3:
	s_or_b32 exec_lo, exec_lo, s1
	s_clause 0x1
	s_load_dwordx2 s[0:1], s[4:5], 0x20
	s_load_dwordx2 s[4:5], s[4:5], 0x8
	s_waitcnt lgkmcnt(0)
	s_barrier
	buffer_gl0_inv
                                        ; implicit-def: $vgpr54_vgpr55
                                        ; implicit-def: $vgpr62_vgpr63
                                        ; implicit-def: $vgpr70_vgpr71
                                        ; implicit-def: $vgpr74_vgpr75
                                        ; implicit-def: $vgpr66_vgpr67
                                        ; implicit-def: $vgpr58_vgpr59
                                        ; implicit-def: $vgpr50_vgpr51
                                        ; implicit-def: $vgpr46_vgpr47
                                        ; implicit-def: $vgpr42_vgpr43
                                        ; implicit-def: $vgpr80_vgpr81
                                        ; implicit-def: $vgpr76_vgpr77
                                        ; implicit-def: $vgpr84_vgpr85
                                        ; implicit-def: $vgpr88_vgpr89
	s_and_saveexec_b32 s2, vcc_lo
	s_cbranch_execz .LBB0_5
; %bb.4:
	v_lshl_add_u32 v0, v169, 4, v170
	ds_read_b128 v[40:43], v0
	ds_read_b128 v[44:47], v0 offset:48
	ds_read_b128 v[48:51], v0 offset:96
	;; [unrolled: 1-line block ×12, first 2 shown]
.LBB0_5:
	s_or_b32 exec_lo, exec_lo, s2
	s_waitcnt lgkmcnt(0)
	v_add_f64 v[0:1], v[46:47], -v[90:91]
	s_mov_b32 s16, 0x4267c47c
	s_mov_b32 s17, 0xbfddbe06
	v_add_f64 v[6:7], v[44:45], -v[88:89]
	v_add_f64 v[93:94], v[44:45], v[88:89]
	v_add_f64 v[2:3], v[50:51], -v[86:87]
	s_mov_b32 s2, 0xe00740e9
	s_mov_b32 s14, 0x42a4c3d2
	s_mov_b32 s3, 0x3fec55a7
	s_mov_b32 s15, 0xbfea55e2
	v_add_f64 v[95:96], v[46:47], v[90:91]
	v_add_f64 v[4:5], v[48:49], -v[84:85]
	v_add_f64 v[97:98], v[48:49], v[84:85]
	v_add_f64 v[8:9], v[58:59], -v[78:79]
	s_mov_b32 s8, 0x1ea71119
	s_mov_b32 s18, 0x66966769
	;; [unrolled: 1-line block ×6, first 2 shown]
	v_add_f64 v[99:100], v[50:51], v[86:87]
	v_add_f64 v[10:11], v[56:57], -v[76:77]
	v_mul_f64 v[105:106], v[0:1], s[16:17]
	v_mul_f64 v[123:124], v[0:1], s[14:15]
	v_add_f64 v[101:102], v[56:57], v[76:77]
	v_mul_f64 v[119:120], v[6:7], s[16:17]
	v_mul_f64 v[153:154], v[6:7], s[14:15]
	;; [unrolled: 1-line block ×3, first 2 shown]
	v_add_f64 v[12:13], v[66:67], -v[82:83]
	v_mul_f64 v[26:27], v[0:1], s[18:19]
	v_mul_f64 v[28:29], v[6:7], s[18:19]
	;; [unrolled: 1-line block ×3, first 2 shown]
	s_mov_b32 s10, 0xebaa3ed8
	v_mul_f64 v[143:144], v[4:5], s[14:15]
	v_mul_f64 v[157:158], v[4:5], s[36:37]
	;; [unrolled: 1-line block ×3, first 2 shown]
	s_mov_b32 s28, 0xb2365da1
	s_mov_b32 s24, 0x4bc48dbf
	;; [unrolled: 1-line block ×5, first 2 shown]
	v_add_f64 v[103:104], v[58:59], v[78:79]
	v_add_f64 v[14:15], v[64:65], -v[80:81]
	v_add_f64 v[109:110], v[64:65], v[80:81]
	v_fma_f64 v[24:25], v[93:94], s[2:3], v[105:106]
	v_fma_f64 v[34:35], v[93:94], s[8:9], v[123:124]
	v_add_f64 v[20:21], v[52:53], v[72:73]
	v_fma_f64 v[30:31], v[95:96], s[2:3], -v[119:120]
	v_fma_f64 v[36:37], v[95:96], s[8:9], -v[153:154]
	v_fma_f64 v[32:33], v[97:98], s[8:9], v[115:116]
	v_mul_f64 v[141:142], v[10:11], s[18:19]
	v_mul_f64 v[133:134], v[12:13], s[36:37]
	;; [unrolled: 1-line block ×6, first 2 shown]
	v_fma_f64 v[159:160], v[99:100], s[8:9], -v[143:144]
	v_fma_f64 v[163:164], v[101:102], s[10:11], v[137:138]
	v_fma_f64 v[172:173], v[93:94], s[10:11], -v[26:27]
	v_fma_f64 v[174:175], v[95:96], s[10:11], v[28:29]
	v_fma_f64 v[26:27], v[93:94], s[10:11], v[26:27]
	v_fma_f64 v[28:29], v[95:96], s[10:11], -v[28:29]
	v_mul_f64 v[178:179], v[0:1], s[36:37]
	v_fma_f64 v[180:181], v[97:98], s[28:29], v[155:156]
	v_fma_f64 v[182:183], v[99:100], s[28:29], -v[157:158]
	v_mul_f64 v[184:185], v[6:7], s[36:37]
	v_add_f64 v[24:25], v[40:41], v[24:25]
	v_add_f64 v[34:35], v[40:41], v[34:35]
	s_mov_b32 s20, 0x24c2f84
	v_add_f64 v[30:31], v[42:43], v[30:31]
	v_add_f64 v[36:37], v[42:43], v[36:37]
	s_mov_b32 s22, 0xd0032e0c
	s_mov_b32 s26, 0x93053d00
	;; [unrolled: 1-line block ×9, first 2 shown]
	v_add_f64 v[111:112], v[66:67], v[82:83]
	v_add_f64 v[107:108], v[74:75], -v[54:55]
	v_add_f64 v[18:19], v[72:73], -v[52:53]
	v_mul_f64 v[135:136], v[14:15], s[36:37]
	v_mul_f64 v[127:128], v[20:21], s[22:23]
	;; [unrolled: 1-line block ×5, first 2 shown]
	v_add_f64 v[24:25], v[32:33], v[24:25]
	v_mul_f64 v[32:33], v[8:9], s[38:39]
	v_fma_f64 v[186:187], v[103:104], s[10:11], -v[141:142]
	v_fma_f64 v[188:189], v[109:110], s[28:29], v[133:134]
	v_fma_f64 v[190:191], v[97:98], s[26:27], -v[38:39]
	v_fma_f64 v[192:193], v[99:100], s[26:27], v[161:162]
	v_add_f64 v[172:173], v[40:41], v[172:173]
	v_add_f64 v[174:175], v[42:43], v[174:175]
	;; [unrolled: 1-line block ×3, first 2 shown]
	v_mul_f64 v[194:195], v[2:3], s[40:41]
	v_mul_f64 v[196:197], v[4:5], s[40:41]
	v_fma_f64 v[38:39], v[97:98], s[26:27], v[38:39]
	v_add_f64 v[26:27], v[40:41], v[26:27]
	v_fma_f64 v[161:162], v[99:100], s[26:27], -v[161:162]
	v_add_f64 v[28:29], v[42:43], v[28:29]
	v_fma_f64 v[200:201], v[101:102], s[26:27], v[145:146]
	v_add_f64 v[34:35], v[180:181], v[34:35]
	v_fma_f64 v[180:181], v[103:104], s[26:27], -v[151:152]
	v_add_f64 v[36:37], v[182:183], v[36:37]
	v_fma_f64 v[182:183], v[93:94], s[28:29], -v[178:179]
	v_fma_f64 v[202:203], v[95:96], s[28:29], v[184:185]
	s_mov_b32 s35, 0x3fddbe06
	v_add_f64 v[24:25], v[163:164], v[24:25]
	s_mov_b32 s34, s16
	v_add_f64 v[113:114], v[54:55], v[74:75]
	v_mul_f64 v[129:130], v[18:19], s[20:21]
	v_mul_f64 v[139:140], v[20:21], s[10:11]
	;; [unrolled: 1-line block ×3, first 2 shown]
	v_fma_f64 v[198:199], v[111:112], s[28:29], -v[135:136]
	v_fma_f64 v[204:205], v[107:108], s[20:21], v[127:128]
	v_fma_f64 v[206:207], v[101:102], s[28:29], -v[32:33]
	v_fma_f64 v[208:209], v[103:104], s[28:29], v[176:177]
	v_add_f64 v[172:173], v[190:191], v[172:173]
	v_add_f64 v[174:175], v[192:193], v[174:175]
	;; [unrolled: 1-line block ×3, first 2 shown]
	v_mul_f64 v[186:187], v[14:15], s[34:35]
	v_mul_f64 v[190:191], v[10:11], s[34:35]
	v_fma_f64 v[192:193], v[109:110], s[22:23], v[147:148]
	v_fma_f64 v[32:33], v[101:102], s[28:29], v[32:33]
	v_add_f64 v[26:27], v[38:39], v[26:27]
	v_fma_f64 v[38:39], v[103:104], s[28:29], -v[176:177]
	v_add_f64 v[28:29], v[161:162], v[28:29]
	v_fma_f64 v[176:177], v[111:112], s[22:23], -v[149:150]
	v_fma_f64 v[210:211], v[97:98], s[22:23], -v[194:195]
	v_add_f64 v[24:25], v[188:189], v[24:25]
	v_mul_f64 v[188:189], v[8:9], s[34:35]
	v_add_f64 v[34:35], v[200:201], v[34:35]
	v_fma_f64 v[200:201], v[99:100], s[22:23], v[196:197]
	v_add_f64 v[36:37], v[180:181], v[36:37]
	v_add_f64 v[180:181], v[40:41], v[182:183]
	;; [unrolled: 1-line block ×3, first 2 shown]
	s_mov_b32 s31, 0x3fefc445
	s_mov_b32 s30, s18
	v_add_f64 v[16:17], v[60:61], v[68:69]
	v_fma_f64 v[202:203], v[113:114], s[22:23], -v[129:130]
	v_add_f64 v[172:173], v[206:207], v[172:173]
	v_add_f64 v[174:175], v[208:209], v[174:175]
	;; [unrolled: 1-line block ×3, first 2 shown]
	v_fma_f64 v[198:199], v[109:110], s[2:3], -v[163:164]
	v_mul_f64 v[206:207], v[20:21], s[8:9]
	v_mul_f64 v[208:209], v[18:19], s[14:15]
	v_add_f64 v[26:27], v[32:33], v[26:27]
	v_fma_f64 v[32:33], v[109:110], s[2:3], v[163:164]
	v_add_f64 v[28:29], v[38:39], v[28:29]
	v_fma_f64 v[38:39], v[111:112], s[2:3], -v[186:187]
	v_mul_f64 v[216:217], v[14:15], s[18:19]
	v_add_f64 v[24:25], v[204:205], v[24:25]
	v_fma_f64 v[204:205], v[111:112], s[2:3], v[186:187]
	v_fma_f64 v[186:187], v[107:108], s[30:31], v[139:140]
	v_add_f64 v[34:35], v[192:193], v[34:35]
	v_add_f64 v[36:37], v[176:177], v[36:37]
	v_add_f64 v[176:177], v[210:211], v[180:181]
	v_add_f64 v[180:181], v[200:201], v[182:183]
	v_fma_f64 v[182:183], v[101:102], s[2:3], -v[188:189]
	v_mul_f64 v[200:201], v[12:13], s[18:19]
	v_fma_f64 v[210:211], v[103:104], s[2:3], v[190:191]
	s_mov_b32 s43, 0x3fea55e2
	s_mov_b32 s42, s14
	v_add_f64 v[117:118], v[70:71], -v[62:63]
	v_mul_f64 v[218:219], v[16:17], s[22:23]
	v_add_f64 v[172:173], v[198:199], v[172:173]
	v_fma_f64 v[198:199], v[107:108], s[42:43], v[206:207]
	v_add_f64 v[30:31], v[202:203], v[30:31]
	v_mul_f64 v[202:203], v[0:1], s[20:21]
	v_add_f64 v[26:27], v[32:33], v[26:27]
	v_fma_f64 v[32:33], v[107:108], s[14:15], v[206:207]
	v_add_f64 v[28:29], v[38:39], v[28:29]
	v_fma_f64 v[38:39], v[113:114], s[8:9], -v[208:209]
	v_mul_f64 v[0:1], v[0:1], s[24:25]
	v_add_f64 v[174:175], v[204:205], v[174:175]
	v_fma_f64 v[204:205], v[113:114], s[8:9], v[208:209]
	v_add_f64 v[34:35], v[186:187], v[34:35]
	v_mul_f64 v[186:187], v[6:7], s[20:21]
	v_fma_f64 v[208:209], v[111:112], s[10:11], v[216:217]
	v_mul_f64 v[6:7], v[6:7], s[24:25]
	v_add_f64 v[176:177], v[182:183], v[176:177]
	v_fma_f64 v[182:183], v[109:110], s[10:11], -v[200:201]
	v_add_f64 v[180:181], v[210:211], v[180:181]
	v_fma_f64 v[178:179], v[93:94], s[28:29], v[178:179]
	v_mul_f64 v[224:225], v[4:5], s[30:31]
	v_mul_f64 v[4:5], v[4:5], s[34:35]
	;; [unrolled: 1-line block ×3, first 2 shown]
	v_fma_f64 v[194:195], v[97:98], s[22:23], v[194:195]
	v_add_f64 v[172:173], v[198:199], v[172:173]
	v_fma_f64 v[198:199], v[117:118], s[40:41], v[218:219]
	v_fma_f64 v[196:197], v[99:100], s[22:23], -v[196:197]
	v_mul_f64 v[232:233], v[8:9], s[14:15]
	v_add_f64 v[26:27], v[32:33], v[26:27]
	v_fma_f64 v[32:33], v[95:96], s[28:29], -v[184:185]
	v_add_f64 v[28:29], v[38:39], v[28:29]
	v_fma_f64 v[184:185], v[117:118], s[20:21], v[218:219]
	v_fma_f64 v[38:39], v[93:94], s[22:23], -v[202:203]
	v_mul_f64 v[218:219], v[2:3], s[30:31]
	v_mul_f64 v[2:3], v[2:3], s[34:35]
	v_fma_f64 v[222:223], v[95:96], s[22:23], v[186:187]
	v_fma_f64 v[186:187], v[95:96], s[22:23], -v[186:187]
	v_fma_f64 v[226:227], v[95:96], s[26:27], v[6:7]
	v_fma_f64 v[6:7], v[95:96], s[26:27], -v[6:7]
	v_add_f64 v[176:177], v[182:183], v[176:177]
	v_fma_f64 v[182:183], v[93:94], s[22:23], v[202:203]
	v_add_f64 v[180:181], v[208:209], v[180:181]
	v_fma_f64 v[208:209], v[93:94], s[26:27], -v[0:1]
	v_fma_f64 v[0:1], v[93:94], s[26:27], v[0:1]
	v_add_f64 v[178:179], v[40:41], v[178:179]
	v_fma_f64 v[230:231], v[99:100], s[10:11], v[224:225]
	v_mul_f64 v[234:235], v[10:11], s[14:15]
	v_fma_f64 v[224:225], v[99:100], s[10:11], -v[224:225]
	v_fma_f64 v[238:239], v[99:100], s[2:3], v[4:5]
	v_mul_f64 v[8:9], v[8:9], s[20:21]
	v_mul_f64 v[10:11], v[10:11], s[20:21]
	v_add_f64 v[32:33], v[42:43], v[32:33]
	v_fma_f64 v[4:5], v[99:100], s[2:3], -v[4:5]
	s_mov_b32 s41, 0x3fcea1e5
	v_add_f64 v[38:39], v[40:41], v[38:39]
	v_fma_f64 v[228:229], v[97:98], s[10:11], -v[218:219]
	v_fma_f64 v[218:219], v[97:98], s[10:11], v[218:219]
	v_add_f64 v[222:223], v[42:43], v[222:223]
	v_add_f64 v[186:187], v[42:43], v[186:187]
	v_fma_f64 v[236:237], v[97:98], s[2:3], -v[2:3]
	v_add_f64 v[226:227], v[42:43], v[226:227]
	v_fma_f64 v[2:3], v[97:98], s[2:3], v[2:3]
	v_add_f64 v[182:183], v[40:41], v[182:183]
	v_add_f64 v[6:7], v[42:43], v[6:7]
	;; [unrolled: 1-line block ×4, first 2 shown]
	s_mov_b32 s40, s24
	v_fma_f64 v[192:193], v[113:114], s[10:11], -v[159:160]
	v_add_f64 v[178:179], v[194:195], v[178:179]
	v_fma_f64 v[188:189], v[101:102], s[2:3], v[188:189]
	v_fma_f64 v[190:191], v[103:104], s[2:3], -v[190:191]
	v_add_f64 v[22:23], v[68:69], -v[60:61]
	v_mul_f64 v[240:241], v[18:19], s[40:41]
	v_add_f64 v[32:33], v[196:197], v[32:33]
	v_fma_f64 v[196:197], v[101:102], s[8:9], -v[232:233]
	v_add_f64 v[121:122], v[62:63], v[70:71]
	v_mul_f64 v[125:126], v[16:17], s[26:27]
	v_add_f64 v[38:39], v[228:229], v[38:39]
	v_mul_f64 v[228:229], v[12:13], s[40:41]
	v_add_f64 v[194:195], v[230:231], v[222:223]
	v_fma_f64 v[222:223], v[103:104], s[8:9], v[234:235]
	v_mul_f64 v[230:231], v[14:15], s[40:41]
	v_add_f64 v[186:187], v[224:225], v[186:187]
	v_fma_f64 v[224:225], v[103:104], s[8:9], -v[234:235]
	v_add_f64 v[182:183], v[218:219], v[182:183]
	v_fma_f64 v[218:219], v[101:102], s[8:9], v[232:233]
	v_add_f64 v[208:209], v[236:237], v[208:209]
	v_add_f64 v[226:227], v[238:239], v[226:227]
	v_fma_f64 v[232:233], v[101:102], s[22:23], -v[8:9]
	v_fma_f64 v[234:235], v[103:104], s[22:23], v[10:11]
	v_add_f64 v[0:1], v[2:3], v[0:1]
	v_mul_f64 v[2:3], v[12:13], s[42:43]
	v_fma_f64 v[8:9], v[101:102], s[22:23], v[8:9]
	v_mul_f64 v[14:15], v[14:15], s[42:43]
	v_add_f64 v[4:5], v[4:5], v[6:7]
	v_fma_f64 v[6:7], v[103:104], s[22:23], -v[10:11]
	v_add_f64 v[36:37], v[192:193], v[36:37]
	v_mul_f64 v[192:193], v[20:21], s[26:27]
	v_add_f64 v[10:11], v[188:189], v[178:179]
	v_add_f64 v[32:33], v[190:191], v[32:33]
	v_fma_f64 v[178:179], v[109:110], s[10:11], v[200:201]
	v_fma_f64 v[188:189], v[111:112], s[10:11], -v[216:217]
	v_add_f64 v[38:39], v[196:197], v[38:39]
	v_add_f64 v[190:191], v[222:223], v[194:195]
	v_fma_f64 v[194:195], v[109:110], s[26:27], -v[228:229]
	v_fma_f64 v[196:197], v[111:112], s[26:27], v[230:231]
	v_mul_f64 v[200:201], v[20:21], s[2:3]
	v_mul_f64 v[216:217], v[18:19], s[34:35]
	v_add_f64 v[182:183], v[218:219], v[182:183]
	v_add_f64 v[186:187], v[224:225], v[186:187]
	v_fma_f64 v[218:219], v[109:110], s[26:27], v[228:229]
	v_fma_f64 v[222:223], v[111:112], s[26:27], -v[230:231]
	v_add_f64 v[208:209], v[232:233], v[208:209]
	v_add_f64 v[224:225], v[234:235], v[226:227]
	v_fma_f64 v[226:227], v[109:110], s[8:9], -v[2:3]
	v_add_f64 v[0:1], v[8:9], v[0:1]
	v_mul_f64 v[8:9], v[20:21], s[28:29]
	v_fma_f64 v[20:21], v[111:112], s[8:9], v[14:15]
	v_mul_f64 v[18:19], v[18:19], s[36:37]
	v_add_f64 v[4:5], v[6:7], v[4:5]
	v_fma_f64 v[2:3], v[109:110], s[8:9], v[2:3]
	v_fma_f64 v[6:7], v[111:112], s[8:9], -v[14:15]
	v_mul_f64 v[131:132], v[22:23], s[24:25]
	v_mul_f64 v[161:162], v[16:17], s[2:3]
	;; [unrolled: 1-line block ×4, first 2 shown]
	v_fma_f64 v[202:203], v[107:108], s[24:25], v[192:193]
	v_fma_f64 v[12:13], v[113:114], s[26:27], v[240:241]
	v_mul_f64 v[14:15], v[16:17], s[8:9]
	v_mul_f64 v[228:229], v[22:23], s[42:43]
	v_add_f64 v[10:11], v[178:179], v[10:11]
	v_add_f64 v[32:33], v[188:189], v[32:33]
	v_fma_f64 v[178:179], v[107:108], s[40:41], v[192:193]
	v_fma_f64 v[188:189], v[113:114], s[26:27], -v[240:241]
	v_add_f64 v[38:39], v[194:195], v[38:39]
	v_add_f64 v[190:191], v[196:197], v[190:191]
	v_fma_f64 v[192:193], v[107:108], s[16:17], v[200:201]
	v_fma_f64 v[194:195], v[113:114], s[2:3], v[216:217]
	v_add_f64 v[182:183], v[218:219], v[182:183]
	v_add_f64 v[186:187], v[222:223], v[186:187]
	v_fma_f64 v[196:197], v[107:108], s[34:35], v[200:201]
	v_fma_f64 v[200:201], v[113:114], s[2:3], -v[216:217]
	v_add_f64 v[208:209], v[226:227], v[208:209]
	v_mul_f64 v[216:217], v[16:17], s[28:29]
	v_fma_f64 v[218:219], v[107:108], s[38:39], v[8:9]
	v_add_f64 v[20:21], v[20:21], v[224:225]
	v_fma_f64 v[222:223], v[113:114], s[28:29], v[18:19]
	v_mul_f64 v[224:225], v[22:23], s[36:37]
	v_add_f64 v[0:1], v[2:3], v[0:1]
	v_add_f64 v[2:3], v[6:7], v[4:5]
	v_fma_f64 v[4:5], v[107:108], s[36:37], v[8:9]
	v_mul_f64 v[6:7], v[16:17], s[10:11]
	v_fma_f64 v[8:9], v[113:114], s[28:29], -v[18:19]
	v_mul_f64 v[16:17], v[22:23], s[30:31]
	v_fma_f64 v[212:213], v[117:118], s[24:25], v[125:126]
	v_fma_f64 v[214:215], v[121:122], s[26:27], -v[131:132]
	v_fma_f64 v[206:207], v[117:118], s[34:35], v[161:162]
	v_fma_f64 v[210:211], v[121:122], s[2:3], -v[163:164]
	v_add_f64 v[174:175], v[204:205], v[174:175]
	v_fma_f64 v[204:205], v[121:122], s[22:23], v[220:221]
	v_fma_f64 v[220:221], v[121:122], s[22:23], -v[220:221]
	v_add_f64 v[18:19], v[202:203], v[176:177]
	v_add_f64 v[12:13], v[12:13], v[180:181]
	v_fma_f64 v[22:23], v[117:118], s[14:15], v[14:15]
	v_fma_f64 v[176:177], v[121:122], s[8:9], v[228:229]
	v_add_f64 v[178:179], v[178:179], v[10:11]
	v_add_f64 v[180:181], v[188:189], v[32:33]
	v_fma_f64 v[14:15], v[117:118], s[42:43], v[14:15]
	v_fma_f64 v[188:189], v[121:122], s[8:9], -v[228:229]
	v_add_f64 v[192:193], v[192:193], v[38:39]
	v_add_f64 v[190:191], v[194:195], v[190:191]
	;; [unrolled: 1-line block ×5, first 2 shown]
	v_fma_f64 v[196:197], v[117:118], s[38:39], v[216:217]
	v_add_f64 v[20:21], v[222:223], v[20:21]
	v_fma_f64 v[200:201], v[121:122], s[28:29], v[224:225]
	v_fma_f64 v[202:203], v[117:118], s[36:37], v[216:217]
	v_fma_f64 v[208:209], v[121:122], s[28:29], -v[224:225]
	v_add_f64 v[216:217], v[4:5], v[0:1]
	v_fma_f64 v[218:219], v[117:118], s[18:19], v[6:7]
	v_add_f64 v[222:223], v[8:9], v[2:3]
	v_fma_f64 v[224:225], v[121:122], s[10:11], v[16:17]
	v_fma_f64 v[226:227], v[117:118], s[30:31], v[6:7]
	v_fma_f64 v[228:229], v[121:122], s[10:11], -v[16:17]
	v_add_f64 v[0:1], v[212:213], v[24:25]
	v_add_f64 v[2:3], v[214:215], v[30:31]
	;; [unrolled: 1-line block ×16, first 2 shown]
	v_mul_lo_u16 v172, v168, 13
	v_add_f64 v[24:25], v[218:219], v[194:195]
	v_add_f64 v[26:27], v[224:225], v[20:21]
	;; [unrolled: 1-line block ×4, first 2 shown]
	s_barrier
	buffer_gl0_inv
	s_and_saveexec_b32 s14, vcc_lo
	s_cbranch_execz .LBB0_7
; %bb.6:
	v_add_f64 v[46:47], v[46:47], v[42:43]
	v_add_f64 v[44:45], v[44:45], v[40:41]
	;; [unrolled: 1-line block ×4, first 2 shown]
	v_mul_f64 v[48:49], v[95:96], s[8:9]
	v_mul_f64 v[50:51], v[93:94], s[8:9]
	v_add_f64 v[46:47], v[58:59], v[46:47]
	v_add_f64 v[44:45], v[56:57], v[44:45]
	v_mul_f64 v[56:57], v[95:96], s[2:3]
	v_mul_f64 v[58:59], v[93:94], s[2:3]
	v_add_f64 v[48:49], v[153:154], v[48:49]
	v_add_f64 v[50:51], v[50:51], -v[123:124]
	v_mul_f64 v[93:94], v[101:102], s[26:27]
	v_mul_f64 v[95:96], v[103:104], s[26:27]
	v_add_f64 v[46:47], v[66:67], v[46:47]
	v_add_f64 v[44:45], v[64:65], v[44:45]
	;; [unrolled: 1-line block ×3, first 2 shown]
	v_add_f64 v[58:59], v[58:59], -v[105:106]
	v_mul_f64 v[64:65], v[99:100], s[28:29]
	v_mul_f64 v[66:67], v[97:98], s[28:29]
	v_add_f64 v[48:49], v[42:43], v[48:49]
	v_add_f64 v[50:51], v[40:41], v[50:51]
	;; [unrolled: 1-line block ×3, first 2 shown]
	v_add_f64 v[93:94], v[93:94], -v[145:146]
	v_add_f64 v[46:47], v[74:75], v[46:47]
	v_add_f64 v[44:45], v[72:73], v[44:45]
	v_mul_f64 v[72:73], v[99:100], s[8:9]
	v_mul_f64 v[74:75], v[97:98], s[8:9]
	v_add_f64 v[42:43], v[42:43], v[56:57]
	v_add_f64 v[40:41], v[40:41], v[58:59]
	;; [unrolled: 1-line block ×3, first 2 shown]
	v_add_f64 v[66:67], v[66:67], -v[155:156]
	v_mul_f64 v[56:57], v[109:110], s[28:29]
	v_mul_f64 v[58:59], v[111:112], s[28:29]
	v_add_f64 v[46:47], v[70:71], v[46:47]
	v_add_f64 v[44:45], v[68:69], v[44:45]
	v_mul_f64 v[68:69], v[101:102], s[10:11]
	v_mul_f64 v[70:71], v[103:104], s[10:11]
	v_add_f64 v[72:73], v[143:144], v[72:73]
	v_add_f64 v[74:75], v[74:75], -v[115:116]
	v_add_f64 v[48:49], v[64:65], v[48:49]
	v_add_f64 v[50:51], v[66:67], v[50:51]
	v_add_f64 v[56:57], v[56:57], -v[133:134]
	v_add_f64 v[58:59], v[135:136], v[58:59]
	v_mul_f64 v[64:65], v[107:108], s[30:31]
	v_mul_f64 v[66:67], v[113:114], s[10:11]
	v_add_f64 v[46:47], v[62:63], v[46:47]
	v_add_f64 v[44:45], v[60:61], v[44:45]
	v_add_f64 v[68:69], v[68:69], -v[137:138]
	v_add_f64 v[70:71], v[141:142], v[70:71]
	v_add_f64 v[42:43], v[72:73], v[42:43]
	;; [unrolled: 1-line block ×3, first 2 shown]
	v_mul_f64 v[60:61], v[109:110], s[22:23]
	v_mul_f64 v[62:63], v[111:112], s[22:23]
	v_add_f64 v[48:49], v[95:96], v[48:49]
	v_add_f64 v[50:51], v[93:94], v[50:51]
	v_mul_f64 v[72:73], v[117:118], s[34:35]
	v_mul_f64 v[74:75], v[121:122], s[2:3]
	v_add_f64 v[66:67], v[66:67], v[159:160]
	v_add_f64 v[64:65], v[139:140], -v[64:65]
	v_add_f64 v[46:47], v[54:55], v[46:47]
	v_add_f64 v[44:45], v[52:53], v[44:45]
	v_mul_f64 v[52:53], v[107:108], s[20:21]
	v_mul_f64 v[54:55], v[113:114], s[22:23]
	v_add_f64 v[42:43], v[70:71], v[42:43]
	v_add_f64 v[40:41], v[68:69], v[40:41]
	v_add_f64 v[60:61], v[60:61], -v[147:148]
	v_add_f64 v[62:63], v[149:150], v[62:63]
	v_mul_f64 v[68:69], v[117:118], s[24:25]
	v_mul_f64 v[70:71], v[121:122], s[26:27]
	v_add_f64 v[46:47], v[82:83], v[46:47]
	v_add_f64 v[44:45], v[80:81], v[44:45]
	v_add_f64 v[52:53], v[127:128], -v[52:53]
	v_add_f64 v[54:55], v[54:55], v[129:130]
	v_add_f64 v[42:43], v[58:59], v[42:43]
	;; [unrolled: 1-line block ×5, first 2 shown]
	v_add_f64 v[62:63], v[125:126], -v[68:69]
	v_add_f64 v[60:61], v[70:71], v[131:132]
	v_add_f64 v[56:57], v[74:75], v[163:164]
	v_add_f64 v[58:59], v[161:162], -v[72:73]
	v_add_f64 v[46:47], v[78:79], v[46:47]
	v_add_f64 v[44:45], v[76:77], v[44:45]
	;; [unrolled: 1-line block ×12, first 2 shown]
	v_and_b32_e32 v52, 0xffff, v172
	v_add_lshl_u32 v52, v169, v52, 4
	v_add_f64 v[50:51], v[90:91], v[64:65]
	v_add_f64 v[48:49], v[88:89], v[66:67]
	ds_write_b128 v52, v[36:39] offset:48
	ds_write_b128 v52, v[32:35] offset:64
	;; [unrolled: 1-line block ×11, first 2 shown]
	ds_write_b128 v52, v[48:51]
	ds_write_b128 v52, v[0:3] offset:192
.LBB0_7:
	s_or_b32 exec_lo, exec_lo, s14
	v_lshlrev_b32_e32 v40, 5, v168
	s_load_dwordx4 s[0:3], s[0:1], 0x0
	s_waitcnt lgkmcnt(0)
	s_barrier
	buffer_gl0_inv
	s_clause 0x1
	global_load_dwordx4 v[44:47], v40, s[4:5]
	global_load_dwordx4 v[40:43], v40, s[4:5] offset:16
	v_add_lshl_u32 v110, v169, v168, 4
	ds_read_b128 v[48:51], v110 offset:208
	ds_read_b128 v[52:55], v110 offset:416
	s_mov_b32 s4, 0xe8584caa
	s_mov_b32 s5, 0x3febb67a
	;; [unrolled: 1-line block ×4, first 2 shown]
	v_lshl_add_u32 v109, v168, 4, v171
	s_waitcnt vmcnt(1) lgkmcnt(1)
	v_mul_f64 v[56:57], v[50:51], v[46:47]
	s_waitcnt vmcnt(0) lgkmcnt(0)
	v_mul_f64 v[58:59], v[54:55], v[42:43]
	v_mul_f64 v[60:61], v[48:49], v[46:47]
	;; [unrolled: 1-line block ×3, first 2 shown]
	v_fma_f64 v[56:57], v[48:49], v[44:45], -v[56:57]
	v_fma_f64 v[52:53], v[52:53], v[40:41], -v[58:59]
	v_fma_f64 v[58:59], v[50:51], v[44:45], v[60:61]
	v_fma_f64 v[54:55], v[54:55], v[40:41], v[62:63]
	ds_read_b128 v[48:51], v110
	v_add_f64 v[60:61], v[56:57], v[52:53]
	s_waitcnt lgkmcnt(0)
	v_add_f64 v[64:65], v[48:49], v[56:57]
	v_add_f64 v[62:63], v[58:59], v[54:55]
	v_add_f64 v[66:67], v[58:59], -v[54:55]
	v_add_f64 v[58:59], v[50:51], v[58:59]
	v_add_f64 v[68:69], v[56:57], -v[52:53]
	v_fma_f64 v[60:61], v[60:61], -0.5, v[48:49]
	v_add_f64 v[48:49], v[64:65], v[52:53]
	v_fma_f64 v[62:63], v[62:63], -0.5, v[50:51]
	v_add_f64 v[50:51], v[58:59], v[54:55]
	v_fma_f64 v[56:57], v[66:67], s[4:5], v[60:61]
	v_fma_f64 v[52:53], v[66:67], s[8:9], v[60:61]
	;; [unrolled: 1-line block ×4, first 2 shown]
	ds_write_b128 v109, v[48:51]
	ds_write_b128 v109, v[56:59] offset:208
	ds_write_b128 v109, v[52:55] offset:416
	s_waitcnt lgkmcnt(0)
	s_barrier
	buffer_gl0_inv
	s_and_saveexec_b32 s8, vcc_lo
	s_cbranch_execz .LBB0_9
; %bb.8:
	s_add_u32 s4, s12, 0x270
	s_addc_u32 s5, s13, 0
	s_clause 0xc
	global_load_dwordx4 v[60:63], v170, s[12:13] offset:624
	global_load_dwordx4 v[64:67], v170, s[4:5] offset:48
	;; [unrolled: 1-line block ×13, first 2 shown]
	ds_read_b128 v[115:118], v109
	ds_read_b128 v[119:122], v109 offset:48
	ds_read_b128 v[123:126], v109 offset:96
	;; [unrolled: 1-line block ×12, first 2 shown]
	s_waitcnt vmcnt(12) lgkmcnt(12)
	v_mul_f64 v[163:164], v[117:118], v[62:63]
	v_mul_f64 v[62:63], v[115:116], v[62:63]
	s_waitcnt vmcnt(11) lgkmcnt(11)
	v_mul_f64 v[177:178], v[121:122], v[66:67]
	v_mul_f64 v[66:67], v[119:120], v[66:67]
	;; [unrolled: 3-line block ×13, first 2 shown]
	v_fma_f64 v[113:114], v[115:116], v[60:61], -v[163:164]
	v_fma_f64 v[115:116], v[117:118], v[60:61], v[62:63]
	v_fma_f64 v[60:61], v[119:120], v[64:65], -v[177:178]
	v_fma_f64 v[62:63], v[121:122], v[64:65], v[66:67]
	v_fma_f64 v[64:65], v[123:124], v[68:69], -v[179:180]
	v_fma_f64 v[66:67], v[125:126], v[68:69], v[70:71]
	v_fma_f64 v[68:69], v[127:128], v[72:73], -v[181:182]
	v_fma_f64 v[70:71], v[129:130], v[72:73], v[74:75]
	v_fma_f64 v[72:73], v[131:132], v[76:77], -v[183:184]
	v_fma_f64 v[74:75], v[133:134], v[76:77], v[78:79]
	v_fma_f64 v[76:77], v[135:136], v[80:81], -v[185:186]
	v_fma_f64 v[78:79], v[137:138], v[80:81], v[82:83]
	v_fma_f64 v[80:81], v[139:140], v[84:85], -v[187:188]
	v_fma_f64 v[82:83], v[141:142], v[84:85], v[86:87]
	v_fma_f64 v[84:85], v[143:144], v[88:89], -v[189:190]
	v_fma_f64 v[86:87], v[145:146], v[88:89], v[90:91]
	v_fma_f64 v[88:89], v[147:148], v[93:94], -v[191:192]
	v_fma_f64 v[90:91], v[149:150], v[93:94], v[95:96]
	v_fma_f64 v[93:94], v[151:152], v[97:98], -v[193:194]
	v_fma_f64 v[95:96], v[153:154], v[97:98], v[99:100]
	v_fma_f64 v[97:98], v[155:156], v[101:102], -v[195:196]
	v_fma_f64 v[99:100], v[157:158], v[101:102], v[103:104]
	v_fma_f64 v[101:102], v[159:160], v[105:106], -v[197:198]
	v_fma_f64 v[103:104], v[161:162], v[105:106], v[107:108]
	v_fma_f64 v[105:106], v[173:174], v[111:112], -v[199:200]
	v_fma_f64 v[107:108], v[175:176], v[111:112], v[201:202]
	ds_write_b128 v109, v[113:116]
	ds_write_b128 v109, v[60:63] offset:48
	ds_write_b128 v109, v[64:67] offset:96
	ds_write_b128 v109, v[68:71] offset:144
	ds_write_b128 v109, v[72:75] offset:192
	ds_write_b128 v109, v[76:79] offset:240
	ds_write_b128 v109, v[80:83] offset:288
	ds_write_b128 v109, v[84:87] offset:336
	ds_write_b128 v109, v[88:91] offset:384
	ds_write_b128 v109, v[93:96] offset:432
	ds_write_b128 v109, v[97:100] offset:480
	ds_write_b128 v109, v[101:104] offset:528
	ds_write_b128 v109, v[105:108] offset:576
.LBB0_9:
	s_or_b32 exec_lo, exec_lo, s8
	s_waitcnt lgkmcnt(0)
	s_barrier
	buffer_gl0_inv
	s_and_saveexec_b32 s4, vcc_lo
	s_cbranch_execz .LBB0_11
; %bb.10:
	ds_read_b128 v[48:51], v109
	ds_read_b128 v[56:59], v109 offset:48
	ds_read_b128 v[52:55], v109 offset:96
	;; [unrolled: 1-line block ×12, first 2 shown]
.LBB0_11:
	s_or_b32 exec_lo, exec_lo, s4
	s_waitcnt lgkmcnt(0)
	s_barrier
	buffer_gl0_inv
	s_and_saveexec_b32 s33, vcc_lo
	s_cbranch_execz .LBB0_13
; %bb.12:
	v_add_f64 v[70:71], v[56:57], -v[0:1]
	v_add_f64 v[93:94], v[58:59], -v[2:3]
	s_mov_b32 s4, 0x4bc48dbf
	s_mov_b32 s5, 0xbfcea1e5
	v_add_f64 v[90:91], v[52:53], -v[4:5]
	v_add_f64 v[88:89], v[54:55], -v[6:7]
	v_add_f64 v[80:81], v[58:59], v[2:3]
	v_add_f64 v[78:79], v[56:57], v[0:1]
	s_mov_b32 s16, 0x24c2f84
	s_mov_b32 s14, 0x4267c47c
	;; [unrolled: 1-line block ×6, first 2 shown]
	v_add_f64 v[82:83], v[36:37], -v[8:9]
	v_add_f64 v[84:85], v[38:39], -v[10:11]
	v_add_f64 v[76:77], v[54:55], v[6:7]
	v_add_f64 v[74:75], v[52:53], v[4:5]
	s_mov_b32 s18, 0x66966769
	s_mov_b32 s28, 0xd0032e0c
	;; [unrolled: 1-line block ×4, first 2 shown]
	v_mul_f64 v[86:87], v[70:71], s[4:5]
	v_mul_f64 v[95:96], v[93:94], s[4:5]
	;; [unrolled: 1-line block ×3, first 2 shown]
	s_mov_b32 s29, 0xbfe7f3cc
	v_mul_f64 v[97:98], v[90:91], s[14:15]
	v_mul_f64 v[103:104], v[88:89], s[14:15]
	s_mov_b32 s27, 0x3fec55a7
	v_add_f64 v[72:73], v[32:33], -v[12:13]
	v_mul_f64 v[111:112], v[70:71], s[16:17]
	v_add_f64 v[99:100], v[38:39], v[10:11]
	v_add_f64 v[107:108], v[34:35], -v[14:15]
	v_add_f64 v[101:102], v[36:37], v[8:9]
	v_mul_f64 v[125:126], v[88:89], s[18:19]
	s_mov_b32 s30, 0x42a4c3d2
	v_mul_f64 v[119:120], v[82:83], s[16:17]
	v_mul_f64 v[121:122], v[84:85], s[16:17]
	s_mov_b32 s31, 0x3fea55e2
	s_mov_b32 s43, 0xbfea55e2
	;; [unrolled: 1-line block ×3, first 2 shown]
	v_add_f64 v[68:69], v[28:29], -v[16:17]
	v_add_f64 v[66:67], v[34:35], v[14:15]
	v_mul_f64 v[123:124], v[90:91], s[18:19]
	v_fma_f64 v[105:106], v[80:81], s[8:9], v[86:87]
	v_fma_f64 v[115:116], v[78:79], s[8:9], -v[95:96]
	v_fma_f64 v[86:87], v[80:81], s[8:9], -v[86:87]
	v_fma_f64 v[117:118], v[78:79], s[8:9], v[95:96]
	v_fma_f64 v[127:128], v[76:77], s[26:27], v[97:98]
	v_fma_f64 v[129:130], v[74:75], s[26:27], -v[103:104]
	v_fma_f64 v[131:132], v[76:77], s[26:27], -v[97:98]
	v_fma_f64 v[103:104], v[74:75], s[26:27], v[103:104]
	v_fma_f64 v[135:136], v[78:79], s[28:29], -v[113:114]
	v_fma_f64 v[133:134], v[80:81], s[28:29], v[111:112]
	v_add_f64 v[97:98], v[32:33], v[12:13]
	v_mul_f64 v[141:142], v[72:73], s[30:31]
	v_mul_f64 v[143:144], v[107:108], s[30:31]
	v_mul_f64 v[147:148], v[84:85], s[42:43]
	v_fma_f64 v[149:150], v[99:100], s[28:29], v[119:120]
	v_fma_f64 v[151:152], v[101:102], s[28:29], -v[121:122]
	v_fma_f64 v[119:120], v[99:100], s[28:29], -v[119:120]
	v_fma_f64 v[121:122], v[101:102], s[28:29], v[121:122]
	v_fma_f64 v[111:112], v[80:81], s[28:29], -v[111:112]
	v_fma_f64 v[155:156], v[74:75], s[10:11], -v[125:126]
	s_mov_b32 s22, 0x2ef20147
	s_mov_b32 s20, 0xb2365da1
	v_add_f64 v[137:138], v[50:51], v[105:106]
	v_add_f64 v[115:116], v[48:49], v[115:116]
	;; [unrolled: 1-line block ×5, first 2 shown]
	s_mov_b32 s24, 0x1ea71119
	s_mov_b32 s23, 0xbfedeba7
	;; [unrolled: 1-line block ×3, first 2 shown]
	v_add_f64 v[135:136], v[48:49], v[135:136]
	s_mov_b32 s25, 0x3fe22d96
	s_mov_b32 s35, 0x3fcea1e5
	;; [unrolled: 1-line block ×3, first 2 shown]
	v_add_f64 v[64:65], v[24:25], -v[20:21]
	v_add_f64 v[62:63], v[18:19], v[30:31]
	v_add_f64 v[95:96], v[20:21], v[24:25]
	v_mul_f64 v[145:146], v[82:83], s[42:43]
	v_fma_f64 v[153:154], v[76:77], s[10:11], v[123:124]
	v_add_f64 v[133:134], v[50:51], v[133:134]
	v_mul_f64 v[157:158], v[107:108], s[34:35]
	v_fma_f64 v[159:160], v[66:67], s[24:25], v[141:142]
	v_fma_f64 v[161:162], v[97:98], s[24:25], -v[143:144]
	v_fma_f64 v[141:142], v[66:67], s[24:25], -v[141:142]
	v_add_f64 v[127:128], v[127:128], v[137:138]
	v_add_f64 v[115:116], v[129:130], v[115:116]
	;; [unrolled: 1-line block ×4, first 2 shown]
	v_add_f64 v[103:104], v[30:31], -v[18:19]
	v_mul_f64 v[131:132], v[68:69], s[22:23]
	v_mul_f64 v[137:138], v[105:106], s[20:21]
	v_fma_f64 v[143:144], v[97:98], s[24:25], v[143:144]
	v_fma_f64 v[123:124], v[76:77], s[10:11], -v[123:124]
	v_add_f64 v[111:112], v[50:51], v[111:112]
	v_fma_f64 v[173:174], v[101:102], s[24:25], -v[147:148]
	v_add_f64 v[135:136], v[155:156], v[135:136]
	s_mov_b32 s45, 0x3fedeba7
	s_mov_b32 s44, s22
	v_add_f64 v[60:61], v[22:23], v[26:27]
	v_add_f64 v[86:87], v[26:27], -v[22:23]
	v_mul_f64 v[139:140], v[72:73], s[34:35]
	v_fma_f64 v[163:164], v[99:100], s[24:25], v[145:146]
	v_add_f64 v[133:134], v[153:154], v[133:134]
	v_fma_f64 v[145:146], v[99:100], s[24:25], -v[145:146]
	s_mov_b32 s37, 0xbfefc445
	s_mov_b32 s41, 0x3fe5384d
	v_add_f64 v[127:128], v[149:150], v[127:128]
	v_add_f64 v[115:116], v[151:152], v[115:116]
	;; [unrolled: 1-line block ×4, first 2 shown]
	v_mul_f64 v[121:122], v[64:65], s[18:19]
	v_mul_f64 v[129:130], v[95:96], s[10:11]
	v_fma_f64 v[153:154], v[62:63], s[20:21], v[131:132]
	v_fma_f64 v[155:156], v[103:104], s[44:45], v[137:138]
	v_fma_f64 v[131:132], v[62:63], s[20:21], -v[131:132]
	v_fma_f64 v[137:138], v[103:104], s[22:23], v[137:138]
	v_add_f64 v[111:112], v[123:124], v[111:112]
	v_fma_f64 v[123:124], v[97:98], s[8:9], -v[157:158]
	v_add_f64 v[135:136], v[173:174], v[135:136]
	s_mov_b32 s36, s18
	s_mov_b32 s40, s16
	v_mul_f64 v[149:150], v[68:69], s[14:15]
	v_mul_f64 v[151:152], v[105:106], s[26:27]
	v_fma_f64 v[175:176], v[66:67], s[8:9], v[139:140]
	v_add_f64 v[133:134], v[163:164], v[133:134]
	v_fma_f64 v[113:114], v[78:79], s[28:29], v[113:114]
	v_fma_f64 v[139:140], v[66:67], s[8:9], -v[139:140]
	v_mul_f64 v[179:180], v[93:94], s[36:37]
	v_add_f64 v[127:128], v[159:160], v[127:128]
	v_add_f64 v[115:116], v[161:162], v[115:116]
	v_add_f64 v[119:120], v[141:142], v[119:120]
	v_add_f64 v[117:118], v[143:144], v[117:118]
	v_mul_f64 v[141:142], v[70:71], s[22:23]
	v_mul_f64 v[161:162], v[93:94], s[22:23]
	v_fma_f64 v[163:164], v[60:61], s[10:11], v[121:122]
	v_fma_f64 v[173:174], v[86:87], s[36:37], v[129:130]
	v_fma_f64 v[121:122], v[60:61], s[10:11], -v[121:122]
	v_fma_f64 v[129:130], v[86:87], s[18:19], v[129:130]
	v_add_f64 v[111:112], v[145:146], v[111:112]
	s_mov_b32 s39, 0xbfddbe06
	v_add_f64 v[123:124], v[123:124], v[135:136]
	v_mul_f64 v[135:136], v[90:91], s[40:41]
	s_mov_b32 s38, s14
	v_fma_f64 v[177:178], v[62:63], s[26:27], v[149:150]
	v_fma_f64 v[145:146], v[103:104], s[38:39], v[151:152]
	;; [unrolled: 1-line block ×3, first 2 shown]
	v_add_f64 v[133:134], v[175:176], v[133:134]
	v_mul_f64 v[175:176], v[88:89], s[40:41]
	v_add_f64 v[185:186], v[48:49], v[113:114]
	v_fma_f64 v[149:150], v[62:63], s[26:27], -v[149:150]
	v_add_f64 v[127:128], v[153:154], v[127:128]
	v_add_f64 v[115:116], v[155:156], v[115:116]
	;; [unrolled: 1-line block ×4, first 2 shown]
	v_mul_f64 v[137:138], v[70:71], s[36:37]
	v_fma_f64 v[153:154], v[80:81], s[20:21], v[141:142]
	v_mul_f64 v[155:156], v[82:83], s[14:15]
	v_fma_f64 v[183:184], v[78:79], s[20:21], -v[161:162]
	v_fma_f64 v[141:142], v[80:81], s[20:21], -v[141:142]
	v_fma_f64 v[161:162], v[78:79], s[20:21], v[161:162]
	v_add_f64 v[139:140], v[139:140], v[111:112]
	v_add_f64 v[58:59], v[58:59], v[50:51]
	;; [unrolled: 1-line block ×3, first 2 shown]
	v_mul_f64 v[159:160], v[95:96], s[20:21]
	v_mul_f64 v[189:190], v[84:85], s[44:45]
	;; [unrolled: 1-line block ×3, first 2 shown]
	v_add_f64 v[123:124], v[145:146], v[123:124]
	v_mul_f64 v[145:146], v[84:85], s[14:15]
	v_add_f64 v[133:134], v[177:178], v[133:134]
	v_add_f64 v[125:126], v[125:126], v[185:186]
	v_add_f64 v[113:114], v[163:164], v[127:128]
	v_add_f64 v[111:112], v[173:174], v[115:116]
	v_add_f64 v[117:118], v[121:122], v[119:120]
	v_add_f64 v[115:116], v[129:130], v[131:132]
	v_fma_f64 v[119:120], v[76:77], s[28:29], v[135:136]
	v_mul_f64 v[121:122], v[90:91], s[4:5]
	v_fma_f64 v[127:128], v[80:81], s[10:11], v[137:138]
	v_add_f64 v[129:130], v[50:51], v[153:154]
	v_fma_f64 v[131:132], v[101:102], s[24:25], v[147:148]
	v_mul_f64 v[147:148], v[88:89], s[4:5]
	v_fma_f64 v[153:154], v[78:79], s[10:11], -v[179:180]
	v_fma_f64 v[163:164], v[74:75], s[28:29], -v[175:176]
	v_add_f64 v[173:174], v[48:49], v[183:184]
	v_add_f64 v[139:140], v[149:150], v[139:140]
	v_fma_f64 v[149:150], v[97:98], s[8:9], v[157:158]
	v_fma_f64 v[135:136], v[76:77], s[28:29], -v[135:136]
	v_add_f64 v[141:142], v[50:51], v[141:142]
	v_fma_f64 v[157:158], v[74:75], s[28:29], v[175:176]
	v_add_f64 v[161:162], v[48:49], v[161:162]
	v_mul_f64 v[175:176], v[72:73], s[36:37]
	v_fma_f64 v[177:178], v[99:100], s[26:27], v[155:156]
	v_mul_f64 v[183:184], v[82:83], s[44:45]
	v_add_f64 v[54:55], v[54:55], v[58:59]
	v_add_f64 v[52:53], v[52:53], v[56:57]
	v_fma_f64 v[187:188], v[86:87], s[44:45], v[159:160]
	v_fma_f64 v[193:194], v[101:102], s[26:27], -v[145:146]
	v_fma_f64 v[56:57], v[103:104], s[14:15], v[151:152]
	v_fma_f64 v[185:186], v[76:77], s[8:9], v[121:122]
	v_add_f64 v[127:128], v[50:51], v[127:128]
	v_add_f64 v[119:120], v[119:120], v[129:130]
	v_mul_f64 v[129:130], v[107:108], s[36:37]
	v_fma_f64 v[191:192], v[74:75], s[8:9], -v[147:148]
	v_add_f64 v[153:154], v[48:49], v[153:154]
	v_add_f64 v[125:126], v[131:132], v[125:126]
	;; [unrolled: 1-line block ×3, first 2 shown]
	v_fma_f64 v[131:132], v[86:87], s[22:23], v[159:160]
	v_fma_f64 v[58:59], v[99:100], s[26:27], -v[155:156]
	v_fma_f64 v[137:138], v[80:81], s[10:11], -v[137:138]
	v_add_f64 v[135:136], v[135:136], v[141:142]
	v_fma_f64 v[141:142], v[101:102], s[26:27], v[145:146]
	v_add_f64 v[145:146], v[157:158], v[161:162]
	v_mul_f64 v[151:152], v[68:69], s[34:35]
	v_fma_f64 v[155:156], v[66:67], s[10:11], v[175:176]
	v_mul_f64 v[157:158], v[72:73], s[14:15]
	v_fma_f64 v[159:160], v[99:100], s[20:21], v[183:184]
	v_mul_f64 v[173:174], v[107:108], s[14:15]
	v_add_f64 v[38:39], v[38:39], v[54:55]
	v_add_f64 v[36:37], v[36:37], v[52:53]
	v_mul_f64 v[161:162], v[105:106], s[8:9]
	v_fma_f64 v[52:53], v[66:67], s[10:11], -v[175:176]
	v_add_f64 v[127:128], v[185:186], v[127:128]
	v_add_f64 v[119:120], v[177:178], v[119:120]
	v_fma_f64 v[177:178], v[101:102], s[20:21], -v[189:190]
	v_fma_f64 v[185:186], v[97:98], s[10:11], -v[129:130]
	v_add_f64 v[153:154], v[191:192], v[153:154]
	v_fma_f64 v[54:55], v[76:77], s[8:9], -v[121:122]
	v_fma_f64 v[129:130], v[97:98], s[10:11], v[129:130]
	v_add_f64 v[163:164], v[193:194], v[163:164]
	v_add_f64 v[125:126], v[149:150], v[125:126]
	;; [unrolled: 1-line block ×4, first 2 shown]
	v_mul_f64 v[149:150], v[64:65], s[30:31]
	v_add_f64 v[135:136], v[141:142], v[145:146]
	v_fma_f64 v[137:138], v[62:63], s[8:9], v[151:152]
	v_fma_f64 v[141:142], v[78:79], s[10:11], v[179:180]
	v_mul_f64 v[145:146], v[68:69], s[42:43]
	v_fma_f64 v[175:176], v[66:67], s[26:27], v[157:158]
	v_fma_f64 v[179:180], v[97:98], s[26:27], -v[173:174]
	v_add_f64 v[34:35], v[34:35], v[38:39]
	v_add_f64 v[32:33], v[32:33], v[36:37]
	v_fma_f64 v[38:39], v[99:100], s[20:21], -v[183:184]
	v_fma_f64 v[36:37], v[62:63], s[8:9], -v[151:152]
	v_add_f64 v[127:128], v[159:160], v[127:128]
	v_add_f64 v[119:120], v[155:156], v[119:120]
	v_mul_f64 v[159:160], v[105:106], s[24:25]
	v_mul_f64 v[155:156], v[95:96], s[24:25]
	v_add_f64 v[153:154], v[177:178], v[153:154]
	v_fma_f64 v[177:178], v[103:104], s[4:5], v[161:162]
	v_fma_f64 v[157:158], v[66:67], s[26:27], -v[157:158]
	v_add_f64 v[163:164], v[185:186], v[163:164]
	v_add_f64 v[56:57], v[56:57], v[125:126]
	v_add_f64 v[54:55], v[54:55], v[121:122]
	v_add_f64 v[52:53], v[52:53], v[58:59]
	v_fma_f64 v[58:59], v[103:104], s[34:35], v[161:162]
	v_add_f64 v[121:122], v[129:130], v[135:136]
	v_fma_f64 v[129:130], v[74:75], s[8:9], v[147:148]
	v_add_f64 v[135:136], v[48:49], v[141:142]
	v_fma_f64 v[147:148], v[62:63], s[24:25], v[145:146]
	v_fma_f64 v[125:126], v[60:61], s[24:25], v[149:150]
	v_mul_f64 v[141:142], v[64:65], s[16:17]
	v_add_f64 v[30:31], v[30:31], v[34:35]
	v_add_f64 v[28:29], v[28:29], v[32:33]
	v_mul_f64 v[32:33], v[93:94], s[38:39]
	v_mul_f64 v[34:35], v[93:94], s[42:43]
	v_add_f64 v[127:128], v[175:176], v[127:128]
	v_add_f64 v[119:120], v[137:138], v[119:120]
	v_mul_f64 v[137:138], v[70:71], s[42:43]
	v_fma_f64 v[161:162], v[103:104], s[30:31], v[159:160]
	v_add_f64 v[153:154], v[179:180], v[153:154]
	v_mul_f64 v[70:71], v[70:71], s[38:39]
	v_fma_f64 v[93:94], v[101:102], s[20:21], v[189:190]
	v_fma_f64 v[175:176], v[86:87], s[42:43], v[155:156]
	v_add_f64 v[163:164], v[177:178], v[163:164]
	v_add_f64 v[38:39], v[38:39], v[54:55]
	v_fma_f64 v[54:55], v[60:61], s[24:25], -v[149:150]
	v_add_f64 v[36:37], v[36:37], v[52:53]
	v_fma_f64 v[52:53], v[86:87], s[30:31], v[155:156]
	v_mul_f64 v[155:156], v[88:89], s[22:23]
	v_add_f64 v[129:130], v[129:130], v[135:136]
	v_mul_f64 v[88:89], v[88:89], s[42:43]
	v_mul_f64 v[151:152], v[95:96], s[28:29]
	v_fma_f64 v[145:146], v[62:63], s[24:25], -v[145:146]
	v_add_f64 v[26:27], v[26:27], v[30:31]
	v_add_f64 v[24:25], v[24:25], v[28:29]
	v_fma_f64 v[28:29], v[78:79], s[26:27], v[32:33]
	v_fma_f64 v[30:31], v[78:79], s[24:25], v[34:35]
	v_add_f64 v[127:128], v[147:148], v[127:128]
	v_mul_f64 v[147:148], v[90:91], s[22:23]
	v_fma_f64 v[149:150], v[80:81], s[24:25], -v[137:138]
	v_mul_f64 v[90:91], v[90:91], s[42:43]
	v_add_f64 v[153:154], v[161:162], v[153:154]
	v_fma_f64 v[161:162], v[80:81], s[26:27], -v[70:71]
	v_fma_f64 v[137:138], v[80:81], s[24:25], v[137:138]
	v_fma_f64 v[34:35], v[78:79], s[24:25], -v[34:35]
	v_fma_f64 v[70:71], v[80:81], s[26:27], v[70:71]
	v_fma_f64 v[32:33], v[78:79], s[26:27], -v[32:33]
	v_mul_f64 v[80:81], v[82:83], s[4:5]
	v_mul_f64 v[82:83], v[82:83], s[36:37]
	v_mul_f64 v[78:79], v[84:85], s[4:5]
	v_mul_f64 v[84:85], v[84:85], s[36:37]
	v_add_f64 v[93:94], v[93:94], v[129:130]
	v_fma_f64 v[179:180], v[74:75], s[24:25], v[88:89]
	v_add_f64 v[38:39], v[157:158], v[38:39]
	v_fma_f64 v[157:158], v[103:104], s[42:43], v[159:160]
	v_add_f64 v[22:23], v[22:23], v[26:27]
	v_add_f64 v[20:21], v[20:21], v[24:25]
	;; [unrolled: 1-line block ×3, first 2 shown]
	v_fma_f64 v[159:160], v[97:98], s[26:27], v[173:174]
	v_fma_f64 v[173:174], v[74:75], s[20:21], v[155:156]
	v_fma_f64 v[129:130], v[76:77], s[20:21], -v[147:148]
	v_add_f64 v[149:150], v[50:51], v[149:150]
	v_fma_f64 v[177:178], v[76:77], s[24:25], -v[90:91]
	v_add_f64 v[26:27], v[48:49], v[30:31]
	v_add_f64 v[161:162], v[50:51], v[161:162]
	v_fma_f64 v[30:31], v[76:77], s[20:21], v[147:148]
	v_add_f64 v[137:138], v[50:51], v[137:138]
	v_fma_f64 v[147:148], v[74:75], s[20:21], -v[155:156]
	v_add_f64 v[34:35], v[48:49], v[34:35]
	v_fma_f64 v[76:77], v[76:77], s[24:25], v[90:91]
	v_add_f64 v[50:51], v[50:51], v[70:71]
	v_fma_f64 v[70:71], v[74:75], s[24:25], -v[88:89]
	v_add_f64 v[32:33], v[48:49], v[32:33]
	v_mul_f64 v[28:29], v[72:73], s[40:41]
	v_fma_f64 v[74:75], v[99:100], s[8:9], -v[80:81]
	v_mul_f64 v[72:73], v[72:73], s[22:23]
	v_mul_f64 v[48:49], v[107:108], s[40:41]
	v_add_f64 v[18:19], v[18:19], v[22:23]
	v_add_f64 v[16:17], v[16:17], v[20:21]
	v_mul_f64 v[107:108], v[107:108], s[22:23]
	v_fma_f64 v[155:156], v[101:102], s[10:11], v[84:85]
	v_add_f64 v[20:21], v[179:180], v[24:25]
	v_fma_f64 v[90:91], v[101:102], s[8:9], v[78:79]
	v_add_f64 v[88:89], v[129:130], v[149:150]
	v_fma_f64 v[129:130], v[99:100], s[10:11], -v[82:83]
	v_add_f64 v[22:23], v[173:174], v[26:27]
	v_add_f64 v[149:150], v[177:178], v[161:162]
	v_fma_f64 v[26:27], v[99:100], s[8:9], v[80:81]
	v_add_f64 v[30:31], v[30:31], v[137:138]
	v_fma_f64 v[78:79], v[101:102], s[8:9], -v[78:79]
	v_add_f64 v[34:35], v[147:148], v[34:35]
	v_fma_f64 v[80:81], v[99:100], s[10:11], v[82:83]
	v_add_f64 v[50:51], v[76:77], v[50:51]
	v_fma_f64 v[76:77], v[101:102], s[10:11], -v[84:85]
	v_add_f64 v[32:33], v[70:71], v[32:33]
	v_mul_f64 v[24:25], v[68:69], s[18:19]
	v_fma_f64 v[82:83], v[66:67], s[28:29], -v[28:29]
	v_mul_f64 v[68:69], v[68:69], s[16:17]
	v_fma_f64 v[99:100], v[66:67], s[20:21], -v[72:73]
	v_add_f64 v[14:15], v[14:15], v[18:19]
	v_add_f64 v[12:13], v[12:13], v[16:17]
	v_mul_f64 v[70:71], v[105:106], s[10:11]
	v_fma_f64 v[84:85], v[97:98], s[28:29], v[48:49]
	v_add_f64 v[16:17], v[155:156], v[20:21]
	v_mul_f64 v[20:21], v[64:65], s[14:15]
	v_add_f64 v[74:75], v[74:75], v[88:89]
	v_mul_f64 v[88:89], v[105:106], s[28:29]
	v_fma_f64 v[105:106], v[97:98], s[20:21], v[107:108]
	v_add_f64 v[101:102], v[129:130], v[149:150]
	v_add_f64 v[18:19], v[90:91], v[22:23]
	v_fma_f64 v[22:23], v[66:67], s[28:29], v[28:29]
	v_add_f64 v[26:27], v[26:27], v[30:31]
	v_fma_f64 v[28:29], v[97:98], s[28:29], -v[48:49]
	v_add_f64 v[30:31], v[78:79], v[34:35]
	v_fma_f64 v[34:35], v[66:67], s[20:21], v[72:73]
	v_add_f64 v[48:49], v[80:81], v[50:51]
	v_fma_f64 v[50:51], v[97:98], s[20:21], -v[107:108]
	v_add_f64 v[32:33], v[76:77], v[32:33]
	v_fma_f64 v[72:73], v[62:63], s[10:11], -v[24:25]
	v_fma_f64 v[80:81], v[62:63], s[28:29], -v[68:69]
	v_mul_f64 v[64:65], v[64:65], s[4:5]
	v_add_f64 v[10:11], v[10:11], v[14:15]
	v_add_f64 v[8:9], v[8:9], v[12:13]
	v_mul_f64 v[78:79], v[95:96], s[8:9]
	v_mul_f64 v[66:67], v[95:96], s[26:27]
	v_fma_f64 v[76:77], v[103:104], s[18:19], v[70:71]
	v_add_f64 v[38:39], v[145:146], v[38:39]
	v_add_f64 v[74:75], v[82:83], v[74:75]
	v_fma_f64 v[90:91], v[103:104], s[16:17], v[88:89]
	v_add_f64 v[12:13], v[105:106], v[16:17]
	v_add_f64 v[82:83], v[99:100], v[101:102]
	;; [unrolled: 1-line block ×4, first 2 shown]
	v_fma_f64 v[18:19], v[62:63], s[10:11], v[24:25]
	v_add_f64 v[22:23], v[22:23], v[26:27]
	v_fma_f64 v[24:25], v[103:104], s[36:37], v[70:71]
	v_add_f64 v[26:27], v[28:29], v[30:31]
	;; [unrolled: 2-line block ×4, first 2 shown]
	v_fma_f64 v[62:63], v[60:61], s[26:27], -v[20:21]
	v_fma_f64 v[48:49], v[60:61], s[28:29], -v[141:142]
	v_fma_f64 v[50:51], v[86:87], s[16:17], v[151:152]
	v_add_f64 v[84:85], v[4:5], v[8:9]
	v_add_f64 v[58:59], v[58:59], v[121:122]
	v_fma_f64 v[70:71], v[86:87], s[14:15], v[66:67]
	v_fma_f64 v[181:182], v[60:61], s[20:21], v[143:144]
	v_fma_f64 v[143:144], v[60:61], s[20:21], -v[143:144]
	v_add_f64 v[68:69], v[72:73], v[74:75]
	v_fma_f64 v[72:73], v[60:61], s[8:9], -v[64:65]
	v_add_f64 v[12:13], v[90:91], v[12:13]
	v_add_f64 v[74:75], v[80:81], v[82:83]
	;; [unrolled: 1-line block ×3, first 2 shown]
	v_fma_f64 v[80:81], v[86:87], s[4:5], v[78:79]
	v_add_f64 v[76:77], v[76:77], v[14:15]
	v_add_f64 v[16:17], v[157:158], v[16:17]
	v_fma_f64 v[121:122], v[60:61], s[28:29], v[141:142]
	v_fma_f64 v[135:136], v[86:87], s[40:41], v[151:152]
	;; [unrolled: 1-line block ×3, first 2 shown]
	v_add_f64 v[90:91], v[18:19], v[22:23]
	v_fma_f64 v[66:67], v[86:87], s[38:39], v[66:67]
	v_add_f64 v[93:94], v[24:25], v[26:27]
	v_fma_f64 v[60:61], v[60:61], s[8:9], v[64:65]
	;; [unrolled: 2-line block ×3, first 2 shown]
	v_add_f64 v[86:87], v[34:35], v[32:33]
	v_add_f64 v[0:1], v[0:1], v[84:85]
	;; [unrolled: 1-line block ×23, first 2 shown]
	v_and_b32_e32 v52, 0xffff, v172
	v_lshl_add_u32 v52, v52, 4, v171
	ds_write_b128 v52, v[0:3]
	ds_write_b128 v52, v[28:31] offset:16
	ds_write_b128 v52, v[24:27] offset:32
	;; [unrolled: 1-line block ×12, first 2 shown]
.LBB0_13:
	s_or_b32 exec_lo, exec_lo, s33
	s_waitcnt lgkmcnt(0)
	s_barrier
	buffer_gl0_inv
	ds_read_b128 v[0:3], v110 offset:208
	ds_read_b128 v[4:7], v110 offset:416
	s_mov_b32 s4, 0xe8584caa
	s_mov_b32 s5, 0xbfebb67a
	;; [unrolled: 1-line block ×4, first 2 shown]
	s_waitcnt lgkmcnt(1)
	v_mul_f64 v[8:9], v[46:47], v[2:3]
	s_waitcnt lgkmcnt(0)
	v_mul_f64 v[10:11], v[42:43], v[6:7]
	v_mul_f64 v[12:13], v[46:47], v[0:1]
	v_mul_f64 v[14:15], v[42:43], v[4:5]
	v_fma_f64 v[8:9], v[44:45], v[0:1], v[8:9]
	v_fma_f64 v[4:5], v[40:41], v[4:5], v[10:11]
	v_fma_f64 v[10:11], v[44:45], v[2:3], -v[12:13]
	v_fma_f64 v[6:7], v[40:41], v[6:7], -v[14:15]
	ds_read_b128 v[0:3], v110
	v_add_f64 v[12:13], v[8:9], v[4:5]
	s_waitcnt lgkmcnt(0)
	v_add_f64 v[16:17], v[0:1], v[8:9]
	v_add_f64 v[14:15], v[10:11], v[6:7]
	v_add_f64 v[18:19], v[10:11], -v[6:7]
	v_add_f64 v[10:11], v[2:3], v[10:11]
	v_add_f64 v[20:21], v[8:9], -v[4:5]
	v_fma_f64 v[12:13], v[12:13], -0.5, v[0:1]
	v_add_f64 v[0:1], v[16:17], v[4:5]
	v_fma_f64 v[14:15], v[14:15], -0.5, v[2:3]
	v_add_f64 v[2:3], v[10:11], v[6:7]
	v_fma_f64 v[4:5], v[18:19], s[4:5], v[12:13]
	v_fma_f64 v[8:9], v[18:19], s[8:9], v[12:13]
	;; [unrolled: 1-line block ×4, first 2 shown]
	ds_write_b128 v109, v[0:3]
	ds_write_b128 v109, v[4:7] offset:208
	ds_write_b128 v109, v[8:11] offset:416
	s_waitcnt lgkmcnt(0)
	s_barrier
	buffer_gl0_inv
	s_and_b32 exec_lo, exec_lo, vcc_lo
	s_cbranch_execz .LBB0_15
; %bb.14:
	s_clause 0xc
	global_load_dwordx4 v[0:3], v170, s[12:13]
	global_load_dwordx4 v[4:7], v170, s[12:13] offset:48
	global_load_dwordx4 v[8:11], v170, s[12:13] offset:96
	;; [unrolled: 1-line block ×12, first 2 shown]
	v_mad_u64_u32 v[60:61], null, s2, v92, 0
	v_mad_u64_u32 v[76:77], null, s0, v168, 0
	v_lshl_add_u32 v100, v169, 4, v170
	v_mad_u64_u32 v[104:105], null, s0, v167, 0
	v_mad_u64_u32 v[106:107], null, s0, v166, 0
	v_mov_b32_e32 v52, v61
	v_mov_b32_e32 v53, v77
	s_mul_i32 s2, s1, 48
	s_mul_hi_u32 s8, s0, 48
	s_mul_i32 s9, s0, 48
	s_add_i32 s8, s8, s2
	v_mad_u64_u32 v[54:55], null, s3, v92, v[52:53]
	v_mov_b32_e32 v92, v105
	v_mov_b32_e32 v93, v107
	v_mad_u64_u32 v[110:111], null, s0, v165, 0
	s_mul_i32 s3, s1, 0x60
	s_mov_b32 s4, 0x1a41a41a
	v_mad_u64_u32 v[62:63], null, s1, v168, v[53:54]
	v_mov_b32_e32 v61, v54
	ds_read_b128 v[52:55], v109
	ds_read_b128 v[56:59], v100 offset:48
	v_mad_u64_u32 v[118:119], null, s1, v167, v[92:93]
	v_mad_u64_u32 v[121:122], null, s1, v166, v[93:94]
	v_mov_b32_e32 v77, v62
	v_lshlrev_b64 v[78:79], 4, v[60:61]
	ds_read_b128 v[60:63], v100 offset:96
	ds_read_b128 v[64:67], v100 offset:144
	;; [unrolled: 1-line block ×4, first 2 shown]
	v_mov_b32_e32 v105, v111
	s_mov_b32 s5, 0x3f9a41a4
	v_lshlrev_b64 v[84:85], 4, v[76:77]
	v_mov_b32_e32 v107, v121
	v_add_co_u32 v153, vcc_lo, s6, v78
	v_add_co_ci_u32_e32 v154, vcc_lo, s7, v79, vcc_lo
	ds_read_b128 v[76:79], v100 offset:288
	ds_read_b128 v[80:83], v100 offset:336
	v_add_co_u32 v108, vcc_lo, v153, v84
	v_add_co_ci_u32_e32 v109, vcc_lo, v154, v85, vcc_lo
	ds_read_b128 v[84:87], v100 offset:384
	ds_read_b128 v[88:91], v100 offset:432
	;; [unrolled: 1-line block ×5, first 2 shown]
	v_add_co_u32 v112, vcc_lo, v108, s9
	v_add_co_ci_u32_e32 v113, vcc_lo, s8, v109, vcc_lo
	v_mad_u64_u32 v[122:123], null, s1, v165, v[105:106]
	v_add_co_u32 v114, vcc_lo, v112, s9
	v_add_co_ci_u32_e32 v115, vcc_lo, s8, v113, vcc_lo
	v_mov_b32_e32 v105, v118
	v_add_co_u32 v116, vcc_lo, v114, s9
	v_add_co_ci_u32_e32 v117, vcc_lo, s8, v115, vcc_lo
	v_mov_b32_e32 v111, v122
	v_lshlrev_b64 v[104:105], 4, v[104:105]
	v_lshlrev_b64 v[106:107], 4, v[106:107]
	v_mad_u64_u32 v[119:120], null, 0x60, s0, v[116:117]
	v_lshlrev_b64 v[110:111], 4, v[110:111]
	v_add_nc_u32_e32 v120, s3, v120
	v_add_co_u32 v123, vcc_lo, v119, s9
	v_add_co_ci_u32_e32 v124, vcc_lo, s8, v120, vcc_lo
	v_add_co_u32 v121, vcc_lo, v123, s9
	v_add_co_ci_u32_e32 v122, vcc_lo, s8, v124, vcc_lo
	;; [unrolled: 2-line block ×3, first 2 shown]
	v_mad_u64_u32 v[125:126], null, 0x60, s0, v[121:122]
	v_add_co_u32 v106, vcc_lo, v153, v106
	v_add_co_ci_u32_e32 v107, vcc_lo, v154, v107, vcc_lo
	v_add_nc_u32_e32 v126, s3, v126
	s_waitcnt vmcnt(12) lgkmcnt(12)
	v_mul_f64 v[127:128], v[54:55], v[2:3]
	v_mul_f64 v[2:3], v[52:53], v[2:3]
	s_waitcnt vmcnt(11) lgkmcnt(11)
	v_mul_f64 v[129:130], v[58:59], v[6:7]
	v_mul_f64 v[6:7], v[56:57], v[6:7]
	;; [unrolled: 3-line block ×13, first 2 shown]
	v_fma_f64 v[52:53], v[52:53], v[0:1], v[127:128]
	v_fma_f64 v[2:3], v[0:1], v[54:55], -v[2:3]
	v_fma_f64 v[54:55], v[56:57], v[4:5], v[129:130]
	v_fma_f64 v[6:7], v[4:5], v[58:59], -v[6:7]
	;; [unrolled: 2-line block ×13, first 2 shown]
	v_mul_f64 v[0:1], v[52:53], s[4:5]
	v_mul_f64 v[2:3], v[2:3], s[4:5]
	v_mul_f64 v[4:5], v[54:55], s[4:5]
	v_mul_f64 v[6:7], v[6:7], s[4:5]
	v_mul_f64 v[8:9], v[56:57], s[4:5]
	v_mul_f64 v[10:11], v[10:11], s[4:5]
	v_mul_f64 v[12:13], v[58:59], s[4:5]
	v_mul_f64 v[14:15], v[14:15], s[4:5]
	v_mul_f64 v[16:17], v[60:61], s[4:5]
	v_mul_f64 v[18:19], v[18:19], s[4:5]
	v_mul_f64 v[20:21], v[62:63], s[4:5]
	v_mul_f64 v[22:23], v[22:23], s[4:5]
	v_mul_f64 v[24:25], v[64:65], s[4:5]
	v_mul_f64 v[26:27], v[26:27], s[4:5]
	v_mul_f64 v[28:29], v[66:67], s[4:5]
	v_mul_f64 v[30:31], v[30:31], s[4:5]
	v_mul_f64 v[32:33], v[68:69], s[4:5]
	v_mul_f64 v[34:35], v[34:35], s[4:5]
	v_mul_f64 v[36:37], v[70:71], s[4:5]
	v_mul_f64 v[38:39], v[38:39], s[4:5]
	v_mul_f64 v[40:41], v[72:73], s[4:5]
	v_mul_f64 v[42:43], v[42:43], s[4:5]
	v_mul_f64 v[44:45], v[74:75], s[4:5]
	v_mul_f64 v[46:47], v[46:47], s[4:5]
	v_mul_f64 v[48:49], v[76:77], s[4:5]
	v_mul_f64 v[50:51], v[50:51], s[4:5]
	v_add_co_u32 v52, vcc_lo, v125, s9
	v_add_co_ci_u32_e32 v53, vcc_lo, s8, v126, vcc_lo
	v_add_co_u32 v54, vcc_lo, v153, v110
	v_add_co_ci_u32_e32 v55, vcc_lo, v154, v111, vcc_lo
	;; [unrolled: 2-line block ×3, first 2 shown]
	global_store_dwordx4 v[108:109], v[0:3], off
	global_store_dwordx4 v[112:113], v[4:7], off
	;; [unrolled: 1-line block ×13, first 2 shown]
.LBB0_15:
	s_endpgm
	.section	.rodata,"a",@progbits
	.p2align	6, 0x0
	.amdhsa_kernel bluestein_single_back_len39_dim1_dp_op_CI_CI
		.amdhsa_group_segment_fixed_size 11856
		.amdhsa_private_segment_fixed_size 0
		.amdhsa_kernarg_size 104
		.amdhsa_user_sgpr_count 6
		.amdhsa_user_sgpr_private_segment_buffer 1
		.amdhsa_user_sgpr_dispatch_ptr 0
		.amdhsa_user_sgpr_queue_ptr 0
		.amdhsa_user_sgpr_kernarg_segment_ptr 1
		.amdhsa_user_sgpr_dispatch_id 0
		.amdhsa_user_sgpr_flat_scratch_init 0
		.amdhsa_user_sgpr_private_segment_size 0
		.amdhsa_wavefront_size32 1
		.amdhsa_uses_dynamic_stack 0
		.amdhsa_system_sgpr_private_segment_wavefront_offset 0
		.amdhsa_system_sgpr_workgroup_id_x 1
		.amdhsa_system_sgpr_workgroup_id_y 0
		.amdhsa_system_sgpr_workgroup_id_z 0
		.amdhsa_system_sgpr_workgroup_info 0
		.amdhsa_system_vgpr_workitem_id 0
		.amdhsa_next_free_vgpr 242
		.amdhsa_next_free_sgpr 46
		.amdhsa_reserve_vcc 1
		.amdhsa_reserve_flat_scratch 0
		.amdhsa_float_round_mode_32 0
		.amdhsa_float_round_mode_16_64 0
		.amdhsa_float_denorm_mode_32 3
		.amdhsa_float_denorm_mode_16_64 3
		.amdhsa_dx10_clamp 1
		.amdhsa_ieee_mode 1
		.amdhsa_fp16_overflow 0
		.amdhsa_workgroup_processor_mode 1
		.amdhsa_memory_ordered 1
		.amdhsa_forward_progress 0
		.amdhsa_shared_vgpr_count 0
		.amdhsa_exception_fp_ieee_invalid_op 0
		.amdhsa_exception_fp_denorm_src 0
		.amdhsa_exception_fp_ieee_div_zero 0
		.amdhsa_exception_fp_ieee_overflow 0
		.amdhsa_exception_fp_ieee_underflow 0
		.amdhsa_exception_fp_ieee_inexact 0
		.amdhsa_exception_int_div_zero 0
	.end_amdhsa_kernel
	.text
.Lfunc_end0:
	.size	bluestein_single_back_len39_dim1_dp_op_CI_CI, .Lfunc_end0-bluestein_single_back_len39_dim1_dp_op_CI_CI
                                        ; -- End function
	.section	.AMDGPU.csdata,"",@progbits
; Kernel info:
; codeLenInByte = 12056
; NumSgprs: 48
; NumVgprs: 242
; ScratchSize: 0
; MemoryBound: 0
; FloatMode: 240
; IeeeMode: 1
; LDSByteSize: 11856 bytes/workgroup (compile time only)
; SGPRBlocks: 5
; VGPRBlocks: 30
; NumSGPRsForWavesPerEU: 48
; NumVGPRsForWavesPerEU: 242
; Occupancy: 4
; WaveLimiterHint : 1
; COMPUTE_PGM_RSRC2:SCRATCH_EN: 0
; COMPUTE_PGM_RSRC2:USER_SGPR: 6
; COMPUTE_PGM_RSRC2:TRAP_HANDLER: 0
; COMPUTE_PGM_RSRC2:TGID_X_EN: 1
; COMPUTE_PGM_RSRC2:TGID_Y_EN: 0
; COMPUTE_PGM_RSRC2:TGID_Z_EN: 0
; COMPUTE_PGM_RSRC2:TIDIG_COMP_CNT: 0
	.text
	.p2alignl 6, 3214868480
	.fill 48, 4, 3214868480
	.type	__hip_cuid_de49de74a48a6862,@object ; @__hip_cuid_de49de74a48a6862
	.section	.bss,"aw",@nobits
	.globl	__hip_cuid_de49de74a48a6862
__hip_cuid_de49de74a48a6862:
	.byte	0                               ; 0x0
	.size	__hip_cuid_de49de74a48a6862, 1

	.ident	"AMD clang version 19.0.0git (https://github.com/RadeonOpenCompute/llvm-project roc-6.4.0 25133 c7fe45cf4b819c5991fe208aaa96edf142730f1d)"
	.section	".note.GNU-stack","",@progbits
	.addrsig
	.addrsig_sym __hip_cuid_de49de74a48a6862
	.amdgpu_metadata
---
amdhsa.kernels:
  - .args:
      - .actual_access:  read_only
        .address_space:  global
        .offset:         0
        .size:           8
        .value_kind:     global_buffer
      - .actual_access:  read_only
        .address_space:  global
        .offset:         8
        .size:           8
        .value_kind:     global_buffer
      - .actual_access:  read_only
        .address_space:  global
        .offset:         16
        .size:           8
        .value_kind:     global_buffer
      - .actual_access:  read_only
        .address_space:  global
        .offset:         24
        .size:           8
        .value_kind:     global_buffer
      - .actual_access:  read_only
        .address_space:  global
        .offset:         32
        .size:           8
        .value_kind:     global_buffer
      - .offset:         40
        .size:           8
        .value_kind:     by_value
      - .address_space:  global
        .offset:         48
        .size:           8
        .value_kind:     global_buffer
      - .address_space:  global
        .offset:         56
        .size:           8
        .value_kind:     global_buffer
      - .address_space:  global
        .offset:         64
        .size:           8
        .value_kind:     global_buffer
      - .address_space:  global
        .offset:         72
        .size:           8
        .value_kind:     global_buffer
      - .offset:         80
        .size:           4
        .value_kind:     by_value
      - .address_space:  global
        .offset:         88
        .size:           8
        .value_kind:     global_buffer
      - .address_space:  global
        .offset:         96
        .size:           8
        .value_kind:     global_buffer
    .group_segment_fixed_size: 11856
    .kernarg_segment_align: 8
    .kernarg_segment_size: 104
    .language:       OpenCL C
    .language_version:
      - 2
      - 0
    .max_flat_workgroup_size: 247
    .name:           bluestein_single_back_len39_dim1_dp_op_CI_CI
    .private_segment_fixed_size: 0
    .sgpr_count:     48
    .sgpr_spill_count: 0
    .symbol:         bluestein_single_back_len39_dim1_dp_op_CI_CI.kd
    .uniform_work_group_size: 1
    .uses_dynamic_stack: false
    .vgpr_count:     242
    .vgpr_spill_count: 0
    .wavefront_size: 32
    .workgroup_processor_mode: 1
amdhsa.target:   amdgcn-amd-amdhsa--gfx1030
amdhsa.version:
  - 1
  - 2
...

	.end_amdgpu_metadata
